;; amdgpu-corpus repo=ROCm/rocFFT kind=compiled arch=gfx906 opt=O3
	.text
	.amdgcn_target "amdgcn-amd-amdhsa--gfx906"
	.amdhsa_code_object_version 6
	.protected	fft_rtc_fwd_len243_factors_3_3_9_3_wgs_432_tpt_27_dim2_sp_ip_CI_sbcc_twdbase8_3step_dirReg ; -- Begin function fft_rtc_fwd_len243_factors_3_3_9_3_wgs_432_tpt_27_dim2_sp_ip_CI_sbcc_twdbase8_3step_dirReg
	.globl	fft_rtc_fwd_len243_factors_3_3_9_3_wgs_432_tpt_27_dim2_sp_ip_CI_sbcc_twdbase8_3step_dirReg
	.p2align	8
	.type	fft_rtc_fwd_len243_factors_3_3_9_3_wgs_432_tpt_27_dim2_sp_ip_CI_sbcc_twdbase8_3step_dirReg,@function
fft_rtc_fwd_len243_factors_3_3_9_3_wgs_432_tpt_27_dim2_sp_ip_CI_sbcc_twdbase8_3step_dirReg: ; @fft_rtc_fwd_len243_factors_3_3_9_3_wgs_432_tpt_27_dim2_sp_ip_CI_sbcc_twdbase8_3step_dirReg
; %bb.0:
	s_load_dwordx4 s[0:3], s[4:5], 0x10
	s_mov_b32 s7, 0
	s_mov_b64 s[20:21], -1
	s_mov_b64 s[22:23], 0
	s_waitcnt lgkmcnt(0)
	s_load_dwordx2 s[18:19], s[0:1], 0x8
	s_load_dwordx2 s[14:15], s[4:5], 0x50
	;; [unrolled: 1-line block ×3, first 2 shown]
	s_waitcnt lgkmcnt(0)
	s_add_u32 s0, s18, -1
	s_addc_u32 s1, s19, -1
	s_lshr_b64 s[0:1], s[0:1], 4
	s_add_u32 s0, s0, 1
	s_addc_u32 s1, s1, 0
	v_mov_b32_e32 v2, s1
	v_mov_b32_e32 v1, s0
	v_cmp_lt_u64_e32 vcc, s[6:7], v[1:2]
	s_cbranch_vccnz .LBB0_2
; %bb.1:
	v_cvt_f32_u32_e32 v1, s0
	s_sub_i32 s7, 0, s0
	v_rcp_iflag_f32_e32 v1, v1
	v_mul_f32_e32 v1, 0x4f7ffffe, v1
	v_cvt_u32_f32_e32 v1, v1
	v_readfirstlane_b32 s8, v1
	s_mul_i32 s7, s7, s8
	s_mul_hi_u32 s7, s8, s7
	s_add_i32 s8, s8, s7
	s_mul_hi_u32 s7, s6, s8
	s_mul_i32 s9, s7, s0
	s_sub_i32 s9, s6, s9
	s_add_i32 s8, s7, 1
	s_sub_i32 s10, s9, s0
	s_cmp_ge_u32 s9, s0
	s_cselect_b32 s7, s8, s7
	s_cselect_b32 s9, s10, s9
	s_add_i32 s8, s7, 1
	s_cmp_ge_u32 s9, s0
	s_cselect_b32 s22, s8, s7
.LBB0_2:
	s_mul_i32 s1, s22, s1
	s_mul_hi_u32 s7, s22, s0
	s_load_dwordx4 s[8:11], s[2:3], 0x8
	s_add_i32 s7, s7, s1
	s_mul_i32 s0, s22, s0
	s_sub_u32 s0, s6, s0
	s_subb_u32 s1, 0, s7
	v_mov_b32_e32 v1, s0
	s_lshl_b64 s[6:7], s[0:1], 4
	v_alignbit_b32 v1, s1, v1, 28
	v_readfirstlane_b32 s0, v1
	s_waitcnt lgkmcnt(0)
	s_mul_i32 s1, s6, s9
	s_mul_hi_u32 s2, s6, s8
	s_mul_i32 s0, s0, s8
	s_add_i32 s1, s2, s1
	s_mul_i32 s2, s11, s22
	s_mul_hi_u32 s3, s10, s22
	s_add_i32 s1, s1, s0
	s_mul_i32 s0, s6, s8
	s_add_i32 s3, s3, s2
	s_mul_i32 s2, s10, s22
	s_add_u32 s2, s2, s0
	s_addc_u32 s3, s3, s1
	v_and_b32_e32 v27, 15, v0
	s_load_dwordx2 s[16:17], s[4:5], 0x0
	v_or_b32_e32 v3, s6, v27
	s_add_u32 s6, s6, 16
	v_mov_b32_e32 v1, s18
	v_mov_b32_e32 v4, s7
	s_addc_u32 s7, s7, 0
	v_mov_b32_e32 v2, s19
	v_cmp_gt_u64_e32 vcc, s[6:7], v[1:2]
	v_cmp_le_u64_e64 s[0:1], s[6:7], v[1:2]
	v_lshrrev_b32_e32 v28, 4, v0
	s_cbranch_vccz .LBB0_8
; %bb.3:
	v_cmp_le_u64_e32 vcc, s[18:19], v[3:4]
                                        ; implicit-def: $vgpr29
                                        ; implicit-def: $vgpr30
                                        ; implicit-def: $vgpr1_vgpr2
                                        ; implicit-def: $vgpr5_vgpr6
	s_and_saveexec_b64 s[6:7], vcc
	s_xor_b64 s[6:7], exec, s[6:7]
                                        ; implicit-def: $vgpr7_vgpr8
; %bb.4:
	v_mov_b32_e32 v8, 0
	v_add_u32_e32 v29, 27, v28
	v_add_u32_e32 v30, 54, v28
	;; [unrolled: 1-line block ×3, first 2 shown]
	v_mov_b32_e32 v2, v8
	v_add_u32_e32 v5, 0xa2, v28
	v_mov_b32_e32 v6, v8
; %bb.5:
	s_or_saveexec_b64 s[6:7], s[6:7]
                                        ; implicit-def: $vgpr11
                                        ; implicit-def: $vgpr19
                                        ; implicit-def: $vgpr9
                                        ; implicit-def: $vgpr15
                                        ; implicit-def: $vgpr17
                                        ; implicit-def: $vgpr21
                                        ; implicit-def: $vgpr13
                                        ; implicit-def: $vgpr23
                                        ; implicit-def: $vgpr25
	s_xor_b64 exec, exec, s[6:7]
	s_cbranch_execz .LBB0_7
; %bb.6:
	v_mad_u64_u32 v[1:2], s[10:11], s8, v27, 0
	v_mad_u64_u32 v[5:6], s[10:11], s12, v28, 0
	;; [unrolled: 1-line block ×3, first 2 shown]
	v_mov_b32_e32 v2, v6
	v_mad_u64_u32 v[8:9], s[10:11], s13, v28, v[2:3]
	s_lshl_b64 s[10:11], s[2:3], 3
	v_mov_b32_e32 v2, v7
	s_add_u32 s20, s14, s10
	v_mov_b32_e32 v6, v8
	s_addc_u32 s10, s15, s11
	v_lshlrev_b64 v[7:8], 3, v[1:2]
	v_add_u32_e32 v1, 0x51, v28
	v_mov_b32_e32 v2, s10
	v_mad_u64_u32 v[9:10], s[10:11], s12, v1, 0
	v_add_co_u32_e32 v15, vcc, s20, v7
	v_addc_co_u32_e32 v16, vcc, v2, v8, vcc
	v_mov_b32_e32 v2, v10
	v_lshlrev_b64 v[6:7], 3, v[5:6]
	v_mad_u64_u32 v[10:11], s[10:11], s13, v1, v[2:3]
	v_add_u32_e32 v5, 0xa2, v28
	v_mad_u64_u32 v[11:12], s[10:11], s12, v5, 0
	v_add_u32_e32 v29, 27, v28
	v_add_co_u32_e32 v6, vcc, v15, v6
	v_mov_b32_e32 v2, v12
	v_mad_u64_u32 v[12:13], s[10:11], s13, v5, v[2:3]
	v_mad_u64_u32 v[13:14], s[10:11], s12, v29, 0
	v_lshlrev_b64 v[8:9], 3, v[9:10]
	v_addc_co_u32_e32 v7, vcc, v16, v7, vcc
	v_add_co_u32_e32 v31, vcc, v15, v8
	v_mov_b32_e32 v2, v14
	v_addc_co_u32_e32 v32, vcc, v16, v9, vcc
	v_lshlrev_b64 v[8:9], 3, v[11:12]
	v_mad_u64_u32 v[10:11], s[10:11], s13, v29, v[2:3]
	v_add_u32_e32 v17, 0x6c, v28
	v_mad_u64_u32 v[11:12], s[10:11], s12, v17, 0
	v_add_co_u32_e32 v33, vcc, v15, v8
	v_mov_b32_e32 v14, v10
	v_mov_b32_e32 v2, v12
	v_addc_co_u32_e32 v34, vcc, v16, v9, vcc
	v_lshlrev_b64 v[8:9], 3, v[13:14]
	v_mad_u64_u32 v[12:13], s[10:11], s13, v17, v[2:3]
	v_add_u32_e32 v10, 0xbd, v28
	v_mad_u64_u32 v[13:14], s[10:11], s12, v10, 0
	v_add_co_u32_e32 v35, vcc, v15, v8
	v_mov_b32_e32 v2, v14
	v_addc_co_u32_e32 v36, vcc, v16, v9, vcc
	v_lshlrev_b64 v[8:9], 3, v[11:12]
	v_mad_u64_u32 v[10:11], s[10:11], s13, v10, v[2:3]
	v_add_u32_e32 v30, 54, v28
	v_mad_u64_u32 v[11:12], s[10:11], s12, v30, 0
	v_add_co_u32_e32 v37, vcc, v15, v8
	v_mov_b32_e32 v14, v10
	v_mov_b32_e32 v2, v12
	v_addc_co_u32_e32 v38, vcc, v16, v9, vcc
	v_lshlrev_b64 v[8:9], 3, v[13:14]
	v_mad_u64_u32 v[12:13], s[10:11], s13, v30, v[2:3]
	v_add_u32_e32 v10, 0x87, v28
	v_mad_u64_u32 v[13:14], s[10:11], s12, v10, 0
	v_add_co_u32_e32 v39, vcc, v15, v8
	v_mov_b32_e32 v2, v14
	v_addc_co_u32_e32 v40, vcc, v16, v9, vcc
	v_lshlrev_b64 v[8:9], 3, v[11:12]
	v_mad_u64_u32 v[10:11], s[10:11], s13, v10, v[2:3]
	v_add_u32_e32 v17, 0xd8, v28
	v_mad_u64_u32 v[11:12], s[10:11], s12, v17, 0
	v_add_co_u32_e32 v41, vcc, v15, v8
	v_mov_b32_e32 v14, v10
	v_mov_b32_e32 v2, v12
	v_addc_co_u32_e32 v42, vcc, v16, v9, vcc
	v_lshlrev_b64 v[8:9], 3, v[13:14]
	v_mad_u64_u32 v[12:13], s[10:11], s13, v17, v[2:3]
	v_add_co_u32_e32 v43, vcc, v15, v8
	v_addc_co_u32_e32 v44, vcc, v16, v9, vcc
	v_lshlrev_b64 v[8:9], 3, v[11:12]
	v_add_co_u32_e32 v45, vcc, v15, v8
	v_addc_co_u32_e32 v46, vcc, v16, v9, vcc
	global_load_dwordx2 v[11:12], v[6:7], off
	global_load_dwordx2 v[25:26], v[31:32], off
	;; [unrolled: 1-line block ×9, first 2 shown]
	v_mov_b32_e32 v8, 0
	v_mov_b32_e32 v2, v8
	;; [unrolled: 1-line block ×3, first 2 shown]
.LBB0_7:
	s_or_b64 exec, exec, s[6:7]
	s_cbranch_execz .LBB0_9
	s_branch .LBB0_10
.LBB0_8:
                                        ; implicit-def: $vgpr11
                                        ; implicit-def: $vgpr19
                                        ; implicit-def: $vgpr9
                                        ; implicit-def: $vgpr15
                                        ; implicit-def: $vgpr17
                                        ; implicit-def: $vgpr21
                                        ; implicit-def: $vgpr13
                                        ; implicit-def: $vgpr23
                                        ; implicit-def: $vgpr25
                                        ; implicit-def: $vgpr29
                                        ; implicit-def: $vgpr30
                                        ; implicit-def: $vgpr1_vgpr2
                                        ; implicit-def: $vgpr5_vgpr6
                                        ; implicit-def: $vgpr7_vgpr8
	s_andn2_b64 vcc, exec, s[20:21]
	s_cbranch_vccnz .LBB0_10
.LBB0_9:
	v_mad_u64_u32 v[1:2], s[6:7], s8, v27, 0
	v_mad_u64_u32 v[5:6], s[6:7], s12, v28, 0
	;; [unrolled: 1-line block ×3, first 2 shown]
	v_mov_b32_e32 v2, v6
	s_waitcnt vmcnt(2)
	v_mad_u64_u32 v[8:9], s[6:7], s13, v28, v[2:3]
	s_lshl_b64 s[6:7], s[2:3], 3
	v_mov_b32_e32 v2, v7
	s_add_u32 s10, s14, s6
	v_mov_b32_e32 v6, v8
	s_addc_u32 s6, s15, s7
	v_lshlrev_b64 v[7:8], 3, v[1:2]
	v_add_u32_e32 v1, 0x51, v28
	v_mov_b32_e32 v2, s6
	v_mad_u64_u32 v[9:10], s[6:7], s12, v1, 0
	s_waitcnt vmcnt(1)
	v_add_co_u32_e32 v15, vcc, s10, v7
	v_addc_co_u32_e32 v16, vcc, v2, v8, vcc
	v_mov_b32_e32 v2, v10
	v_lshlrev_b64 v[6:7], 3, v[5:6]
	v_mad_u64_u32 v[10:11], s[6:7], s13, v1, v[2:3]
	v_add_u32_e32 v5, 0xa2, v28
	v_mad_u64_u32 v[11:12], s[6:7], s12, v5, 0
	v_add_u32_e32 v29, 27, v28
	v_add_co_u32_e32 v6, vcc, v15, v6
	v_mov_b32_e32 v2, v12
	v_mad_u64_u32 v[12:13], s[6:7], s13, v5, v[2:3]
	v_mad_u64_u32 v[13:14], s[6:7], s12, v29, 0
	v_lshlrev_b64 v[8:9], 3, v[9:10]
	v_addc_co_u32_e32 v7, vcc, v16, v7, vcc
	v_add_co_u32_e32 v31, vcc, v15, v8
	v_mov_b32_e32 v2, v14
	v_addc_co_u32_e32 v32, vcc, v16, v9, vcc
	v_lshlrev_b64 v[8:9], 3, v[11:12]
	v_mad_u64_u32 v[10:11], s[6:7], s13, v29, v[2:3]
	s_waitcnt vmcnt(0)
	v_add_u32_e32 v17, 0x6c, v28
	v_mad_u64_u32 v[11:12], s[6:7], s12, v17, 0
	v_add_co_u32_e32 v33, vcc, v15, v8
	v_mov_b32_e32 v14, v10
	v_mov_b32_e32 v2, v12
	v_addc_co_u32_e32 v34, vcc, v16, v9, vcc
	v_lshlrev_b64 v[8:9], 3, v[13:14]
	v_mad_u64_u32 v[12:13], s[6:7], s13, v17, v[2:3]
	v_add_u32_e32 v10, 0xbd, v28
	v_mad_u64_u32 v[13:14], s[6:7], s12, v10, 0
	v_add_co_u32_e32 v35, vcc, v15, v8
	v_mov_b32_e32 v2, v14
	v_addc_co_u32_e32 v36, vcc, v16, v9, vcc
	v_lshlrev_b64 v[8:9], 3, v[11:12]
	v_mad_u64_u32 v[10:11], s[6:7], s13, v10, v[2:3]
	v_add_u32_e32 v30, 54, v28
	v_mad_u64_u32 v[11:12], s[6:7], s12, v30, 0
	v_add_co_u32_e32 v37, vcc, v15, v8
	v_mov_b32_e32 v14, v10
	v_mov_b32_e32 v2, v12
	v_addc_co_u32_e32 v38, vcc, v16, v9, vcc
	v_lshlrev_b64 v[8:9], 3, v[13:14]
	v_mad_u64_u32 v[12:13], s[6:7], s13, v30, v[2:3]
	v_add_u32_e32 v10, 0x87, v28
	v_mad_u64_u32 v[13:14], s[6:7], s12, v10, 0
	v_add_co_u32_e32 v39, vcc, v15, v8
	v_mov_b32_e32 v2, v14
	v_addc_co_u32_e32 v40, vcc, v16, v9, vcc
	v_lshlrev_b64 v[8:9], 3, v[11:12]
	v_mad_u64_u32 v[10:11], s[6:7], s13, v10, v[2:3]
	v_add_u32_e32 v17, 0xd8, v28
	v_mad_u64_u32 v[11:12], s[6:7], s12, v17, 0
	v_add_co_u32_e32 v41, vcc, v15, v8
	v_mov_b32_e32 v14, v10
	v_mov_b32_e32 v2, v12
	v_addc_co_u32_e32 v42, vcc, v16, v9, vcc
	v_lshlrev_b64 v[8:9], 3, v[13:14]
	v_mad_u64_u32 v[12:13], s[6:7], s13, v17, v[2:3]
	v_add_co_u32_e32 v43, vcc, v15, v8
	v_addc_co_u32_e32 v44, vcc, v16, v9, vcc
	v_lshlrev_b64 v[8:9], 3, v[11:12]
	v_add_co_u32_e32 v45, vcc, v15, v8
	v_addc_co_u32_e32 v46, vcc, v16, v9, vcc
	global_load_dwordx2 v[11:12], v[6:7], off
	global_load_dwordx2 v[25:26], v[31:32], off
	;; [unrolled: 1-line block ×9, first 2 shown]
	v_mov_b32_e32 v8, 0
	v_mov_b32_e32 v2, v8
	;; [unrolled: 1-line block ×3, first 2 shown]
.LBB0_10:
	s_waitcnt vmcnt(7)
	v_add_f32_e32 v7, v25, v11
	s_waitcnt vmcnt(6)
	v_add_f32_e32 v31, v25, v23
	v_add_f32_e32 v33, v23, v7
	v_add_f32_e32 v7, v26, v12
	v_fmac_f32_e32 v11, -0.5, v31
	v_add_f32_e32 v34, v24, v7
	v_add_f32_e32 v7, v26, v24
	v_sub_f32_e32 v32, v26, v24
	v_mov_b32_e32 v31, v11
	v_fmac_f32_e32 v12, -0.5, v7
	v_fmac_f32_e32 v31, 0x3f5db3d7, v32
	v_fmac_f32_e32 v11, 0xbf5db3d7, v32
	v_sub_f32_e32 v7, v25, v23
	v_mov_b32_e32 v32, v12
	v_fmac_f32_e32 v32, 0xbf5db3d7, v7
	v_fmac_f32_e32 v12, 0x3f5db3d7, v7
	s_waitcnt vmcnt(4)
	v_add_f32_e32 v7, v13, v21
	s_waitcnt vmcnt(3)
	v_add_f32_e32 v23, v21, v19
	v_add_f32_e32 v25, v7, v19
	v_add_f32_e32 v7, v14, v22
	v_fmac_f32_e32 v13, -0.5, v23
	v_add_f32_e32 v26, v7, v20
	v_add_f32_e32 v7, v22, v20
	v_sub_f32_e32 v24, v22, v20
	v_mov_b32_e32 v23, v13
	v_fmac_f32_e32 v14, -0.5, v7
	v_fmac_f32_e32 v23, 0x3f5db3d7, v24
	v_fmac_f32_e32 v13, 0xbf5db3d7, v24
	v_sub_f32_e32 v7, v21, v19
	v_mov_b32_e32 v24, v14
	v_fmac_f32_e32 v24, 0xbf5db3d7, v7
	v_fmac_f32_e32 v14, 0x3f5db3d7, v7
	;; [unrolled: 18-line block ×3, first 2 shown]
	v_mul_u32_u24_e32 v7, 0x180, v28
	v_lshlrev_b32_e32 v15, 3, v27
	v_add3_u32 v16, 0, v7, v15
	v_mul_i32_i24_e32 v7, 0x180, v29
	v_add3_u32 v37, 0, v7, v15
	v_mul_i32_i24_e32 v7, 0x180, v30
	ds_write2_b64 v16, v[33:34], v[31:32] offset1:16
	ds_write_b64 v16, v[11:12] offset:256
	ds_write2_b64 v37, v[25:26], v[23:24] offset1:16
	ds_write_b64 v37, v[13:14] offset:256
	v_add3_u32 v26, 0, v7, v15
	v_mul_lo_u16_e32 v43, 0x56, v28
	v_mov_b32_e32 v7, 3
	ds_write2_b64 v26, v[21:22], v[19:20] offset1:16
	ds_write_b64 v26, v[9:10] offset:256
	v_mul_lo_u16_sdwa v9, v43, v7 dst_sel:DWORD dst_unused:UNUSED_PAD src0_sel:BYTE_1 src1_sel:DWORD
	s_movk_i32 s6, 0xab
	v_sub_u16_e32 v9, v28, v9
	v_mul_lo_u16_sdwa v13, v29, s6 dst_sel:DWORD dst_unused:UNUSED_PAD src0_sel:BYTE_0 src1_sel:DWORD
	v_and_b32_e32 v44, 0xff, v9
	v_lshrrev_b16_e32 v45, 9, v13
	v_lshlrev_b32_e32 v9, 4, v44
	v_mul_lo_u16_e32 v13, 3, v45
	s_waitcnt lgkmcnt(0)
	s_barrier
	global_load_dwordx4 v[9:12], v9, s[16:17]
	v_sub_u16_e32 v13, v29, v13
	v_and_b32_e32 v46, 0xff, v13
	v_lshlrev_b32_e32 v13, 4, v46
	global_load_dwordx4 v[18:21], v13, s[16:17]
	v_mul_lo_u16_sdwa v13, v30, s6 dst_sel:DWORD dst_unused:UNUSED_PAD src0_sel:BYTE_0 src1_sel:DWORD
	v_lshrrev_b16_e32 v47, 9, v13
	v_mul_lo_u16_e32 v13, 3, v47
	v_sub_u16_e32 v13, v30, v13
	v_and_b32_e32 v48, 0xff, v13
	v_lshlrev_b32_e32 v13, 4, v48
	global_load_dwordx4 v[22:25], v13, s[16:17]
	v_lshlrev_b32_e32 v13, 8, v28
	v_sub_u32_e32 v17, v16, v13
	ds_read_b64 v[13:14], v17 offset:10368
	ds_read_b64 v[31:32], v17 offset:13824
	;; [unrolled: 1-line block ×3, first 2 shown]
	ds_read_b64 v[35:36], v17
	s_movk_i32 s6, 0x51
	v_cmp_gt_u64_e32 vcc, s[18:19], v[3:4]
	s_or_b64 s[0:1], s[0:1], vcc
	s_waitcnt vmcnt(2) lgkmcnt(3)
	v_mul_f32_e32 v16, v10, v14
	v_mul_f32_e32 v49, v10, v13
	v_fma_f32 v16, v9, v13, -v16
	v_fmac_f32_e32 v49, v9, v14
	ds_read_b64 v[9:10], v17 offset:20736
	v_lshlrev_b32_e32 v13, 8, v29
	v_sub_u32_e32 v13, v37, v13
	ds_read_b64 v[37:38], v17 offset:24192
	ds_read_b64 v[39:40], v17 offset:27648
	ds_read_b64 v[41:42], v13
	s_waitcnt lgkmcnt(3)
	v_mul_f32_e32 v14, v12, v10
	v_fma_f32 v14, v11, v9, -v14
	v_mul_f32_e32 v12, v12, v9
	s_waitcnt vmcnt(1)
	v_mul_f32_e32 v9, v19, v32
	v_fmac_f32_e32 v12, v11, v10
	v_fma_f32 v50, v18, v31, -v9
	v_mul_f32_e32 v31, v19, v31
	s_waitcnt lgkmcnt(2)
	v_mul_f32_e32 v9, v21, v38
	v_add_f32_e32 v11, v16, v14
	v_fmac_f32_e32 v31, v18, v32
	v_fma_f32 v32, v20, v37, -v9
	v_mul_f32_e32 v37, v21, v37
	s_waitcnt vmcnt(0)
	v_mul_f32_e32 v9, v23, v34
	v_mul_f32_e32 v23, v23, v33
	v_add_f32_e32 v10, v35, v16
	v_fma_f32 v35, -0.5, v11, v35
	v_add_f32_e32 v11, v36, v49
	v_fmac_f32_e32 v37, v20, v38
	v_fma_f32 v38, v22, v33, -v9
	v_fmac_f32_e32 v23, v22, v34
	v_add_f32_e32 v11, v11, v12
	v_sub_f32_e32 v22, v49, v12
	v_add_f32_e32 v12, v49, v12
	v_add_f32_e32 v10, v10, v14
	v_fmac_f32_e32 v36, -0.5, v12
	v_sub_f32_e32 v12, v16, v14
	v_mov_b32_e32 v14, 9
	s_waitcnt lgkmcnt(1)
	v_mul_f32_e32 v9, v40, v25
	v_mul_u32_u24_sdwa v16, v43, v14 dst_sel:DWORD dst_unused:UNUSED_PAD src0_sel:BYTE_1 src1_sel:DWORD
	v_fma_f32 v33, v39, v24, -v9
	v_lshlrev_b32_e32 v9, 8, v30
	v_add_lshl_u32 v16, v16, v44, 7
	v_mov_b32_e32 v18, v35
	v_mov_b32_e32 v19, v36
	v_sub_u32_e32 v9, v26, v9
	v_fmac_f32_e32 v18, 0x3f5db3d7, v22
	v_fmac_f32_e32 v19, 0xbf5db3d7, v12
	v_add3_u32 v16, 0, v16, v15
	ds_read_b64 v[20:21], v9
	s_waitcnt lgkmcnt(0)
	s_barrier
	ds_write2_b64 v16, v[10:11], v[18:19] offset1:48
	v_add_f32_e32 v11, v41, v50
	v_add_f32_e32 v10, v50, v32
	;; [unrolled: 1-line block ×4, first 2 shown]
	v_fma_f32 v41, -0.5, v10, v41
	v_add_f32_e32 v19, v11, v37
	v_add_f32_e32 v11, v31, v37
	v_fmac_f32_e32 v36, 0x3f5db3d7, v12
	v_sub_f32_e32 v12, v31, v37
	v_mov_b32_e32 v10, v41
	v_fmac_f32_e32 v42, -0.5, v11
	v_fmac_f32_e32 v10, 0x3f5db3d7, v12
	v_fmac_f32_e32 v41, 0xbf5db3d7, v12
	v_sub_f32_e32 v12, v50, v32
	v_mov_b32_e32 v11, v42
	v_mul_f32_e32 v34, v39, v25
	v_fmac_f32_e32 v11, 0xbf5db3d7, v12
	v_fmac_f32_e32 v42, 0x3f5db3d7, v12
	v_add_f32_e32 v12, v20, v38
	v_fmac_f32_e32 v34, v40, v24
	v_add_f32_e32 v24, v12, v33
	v_add_f32_e32 v12, v21, v23
	v_fmac_f32_e32 v35, 0xbf5db3d7, v22
	v_add_f32_e32 v25, v12, v34
	v_add_f32_e32 v12, v23, v34
	ds_write_b64 v16, v[35:36] offset:768
	v_add_f32_e32 v16, v38, v33
	v_fmac_f32_e32 v21, -0.5, v12
	v_fma_f32 v20, -0.5, v16, v20
	v_sub_f32_e32 v16, v23, v34
	v_sub_f32_e32 v12, v38, v33
	v_mov_b32_e32 v23, v21
	v_fmac_f32_e32 v23, 0xbf5db3d7, v12
	v_fmac_f32_e32 v21, 0x3f5db3d7, v12
	v_mul_u32_u24_e32 v12, 9, v45
	v_add_lshl_u32 v12, v12, v46, 7
	v_add3_u32 v12, 0, v12, v15
	ds_write2_b64 v12, v[18:19], v[10:11] offset1:48
	ds_write_b64 v12, v[41:42] offset:768
	v_mul_u32_u24_e32 v10, 9, v47
	v_mov_b32_e32 v22, v20
	v_add_lshl_u32 v10, v10, v48, 7
	v_fmac_f32_e32 v22, 0x3f5db3d7, v16
	v_add3_u32 v10, 0, v10, v15
	v_fmac_f32_e32 v20, 0xbf5db3d7, v16
	ds_write2_b64 v10, v[24:25], v[22:23] offset1:48
	ds_write_b64 v10, v[20:21] offset:768
	v_mul_lo_u16_e32 v10, 29, v28
	v_mul_lo_u16_sdwa v11, v10, v14 dst_sel:DWORD dst_unused:UNUSED_PAD src0_sel:BYTE_1 src1_sel:DWORD
	v_sub_u16_e32 v11, v28, v11
	v_and_b32_e32 v11, 0xff, v11
	v_lshlrev_b32_e32 v12, 6, v11
	s_waitcnt lgkmcnt(0)
	s_barrier
	global_load_dwordx4 v[18:21], v12, s[16:17] offset:48
	global_load_dwordx4 v[22:25], v12, s[16:17] offset:64
	;; [unrolled: 1-line block ×4, first 2 shown]
	ds_read_b64 v[39:40], v13
	ds_read_b64 v[41:42], v9
	ds_read_b64 v[43:44], v17 offset:20736
	ds_read_b64 v[45:46], v17 offset:24192
	;; [unrolled: 1-line block ×3, first 2 shown]
	v_mul_u32_u24_sdwa v10, v10, s6 dst_sel:DWORD dst_unused:UNUSED_PAD src0_sel:BYTE_1 src1_sel:DWORD
	v_add_lshl_u32 v10, v10, v11, 7
	s_mov_b32 s6, 0xbf248dbb
	s_waitcnt vmcnt(3) lgkmcnt(4)
	v_mul_f32_e32 v12, v19, v40
	v_mul_f32_e32 v14, v19, v39
	v_fma_f32 v12, v18, v39, -v12
	v_fmac_f32_e32 v14, v18, v40
	ds_read_b64 v[18:19], v17 offset:10368
	s_waitcnt lgkmcnt(4)
	v_mul_f32_e32 v16, v21, v42
	v_mul_f32_e32 v26, v21, v41
	v_fma_f32 v16, v20, v41, -v16
	v_fmac_f32_e32 v26, v20, v42
	ds_read_b64 v[20:21], v17 offset:13824
	ds_read_b64 v[39:40], v17 offset:17280
	ds_read_b64 v[41:42], v17
	s_waitcnt vmcnt(2) lgkmcnt(3)
	v_mul_f32_e32 v49, v23, v19
	v_fma_f32 v49, v22, v18, -v49
	v_mul_f32_e32 v18, v23, v18
	v_fmac_f32_e32 v18, v22, v19
	s_waitcnt lgkmcnt(2)
	v_mul_f32_e32 v19, v25, v21
	v_fma_f32 v22, v24, v20, -v19
	v_mul_f32_e32 v20, v25, v20
	s_waitcnt vmcnt(1) lgkmcnt(1)
	v_mul_f32_e32 v19, v32, v40
	v_mul_f32_e32 v23, v32, v39
	s_waitcnt vmcnt(0)
	v_mul_f32_e32 v25, v46, v36
	v_mul_f32_e32 v32, v48, v38
	v_fmac_f32_e32 v20, v24, v21
	v_fma_f32 v21, v31, v39, -v19
	v_fmac_f32_e32 v23, v31, v40
	v_mul_f32_e32 v19, v44, v34
	v_mul_f32_e32 v24, v43, v34
	v_fma_f32 v25, v45, v35, -v25
	v_mul_f32_e32 v31, v45, v36
	v_fma_f32 v32, v47, v37, -v32
	v_fma_f32 v19, v43, v33, -v19
	v_fmac_f32_e32 v24, v44, v33
	v_fmac_f32_e32 v31, v46, v35
	v_mul_f32_e32 v33, v47, v38
	v_add_f32_e32 v34, v12, v32
	v_add_f32_e32 v35, v16, v25
	v_fmac_f32_e32 v33, v48, v37
	v_sub_f32_e32 v16, v16, v25
	v_add_f32_e32 v25, v26, v31
	v_sub_f32_e32 v26, v26, v31
	v_add_f32_e32 v31, v49, v19
	v_add_f32_e32 v45, v35, v34
	v_sub_f32_e32 v12, v12, v32
	v_add_f32_e32 v32, v14, v33
	v_sub_f32_e32 v33, v14, v33
	v_sub_f32_e32 v36, v49, v19
	v_add_f32_e32 v37, v18, v24
	v_sub_f32_e32 v24, v18, v24
	s_waitcnt lgkmcnt(0)
	v_mov_b32_e32 v18, v41
	v_mov_b32_e32 v19, v42
	v_add_f32_e32 v46, v31, v45
	v_mul_f32_e32 v14, 0x3f248dbb, v12
	v_mul_f32_e32 v38, 0x3f248dbb, v33
	v_sub_f32_e32 v39, v22, v21
	v_fmac_f32_e32 v18, 0x3f441b7d, v34
	v_fmac_f32_e32 v19, 0x3f441b7d, v32
	v_add_f32_e32 v43, v22, v21
	v_add_f32_e32 v22, v22, v46
	;; [unrolled: 1-line block ×3, first 2 shown]
	v_fmac_f32_e32 v14, 0x3f7c1c5c, v16
	v_fmac_f32_e32 v38, 0x3f7c1c5c, v26
	;; [unrolled: 1-line block ×4, first 2 shown]
	v_add_f32_e32 v47, v37, v46
	v_fmac_f32_e32 v14, 0x3f5db3d7, v36
	v_fmac_f32_e32 v38, 0x3f5db3d7, v24
	v_sub_f32_e32 v40, v20, v23
	v_fmac_f32_e32 v18, -0.5, v31
	v_fmac_f32_e32 v19, -0.5, v37
	v_add_f32_e32 v44, v20, v23
	v_add_f32_e32 v20, v20, v47
	v_fmac_f32_e32 v14, 0x3eaf1d44, v39
	v_fmac_f32_e32 v38, 0x3eaf1d44, v40
	;; [unrolled: 1-line block ×4, first 2 shown]
	v_add_f32_e32 v21, v21, v22
	v_add_f32_e32 v22, v23, v20
	;; [unrolled: 1-line block ×3, first 2 shown]
	v_sub_f32_e32 v19, v19, v14
	v_add_f32_e32 v20, v41, v21
	v_add_f32_e32 v21, v42, v22
	v_add3_u32 v47, 0, v10, v15
	s_barrier
	ds_write2_b64 v47, v[20:21], v[18:19] offset1:144
	v_add_f32_e32 v21, v43, v45
	v_add_f32_e32 v20, v31, v41
	v_fmac_f32_e32 v20, -0.5, v21
	v_add_f32_e32 v21, v37, v42
	v_add_f32_e32 v22, v44, v46
	v_fmac_f32_e32 v21, -0.5, v22
	v_add_f32_e32 v22, v39, v12
	v_fma_f32 v11, 2.0, v14, v19
	v_mul_f32_e32 v19, 0xbf248dbb, v39
	v_sub_f32_e32 v22, v22, v16
	v_add_f32_e32 v23, v40, v33
	v_fma_f32 v10, -2.0, v38, v18
	v_fmac_f32_e32 v19, 0x3f7c1c5c, v12
	v_mul_f32_e32 v18, 0xbf248dbb, v40
	v_sub_f32_e32 v23, v23, v26
	v_fmac_f32_e32 v21, 0xbf5db3d7, v22
	v_mul_f32_e32 v38, 0x3f5db3d7, v22
	v_fmac_f32_e32 v18, 0x3f7c1c5c, v33
	v_fmac_f32_e32 v19, 0xbf5db3d7, v36
	v_mov_b32_e32 v14, v41
	v_mov_b32_e32 v15, v42
	v_fmac_f32_e32 v20, 0x3f5db3d7, v23
	v_mul_f32_e32 v22, 0x3f5db3d7, v23
	v_fma_f32 v23, 2.0, v38, v21
	v_mul_f32_e32 v38, 0x3f7c1c5c, v39
	v_fmac_f32_e32 v18, 0xbf5db3d7, v24
	v_fmac_f32_e32 v19, 0x3eaf1d44, v16
	;; [unrolled: 1-line block ×4, first 2 shown]
	v_fma_f32 v16, v16, s6, -v38
	v_mul_f32_e32 v38, 0x3f7c1c5c, v40
	v_fmac_f32_e32 v41, 0x3f441b7d, v35
	v_fmac_f32_e32 v42, 0x3f441b7d, v25
	;; [unrolled: 1-line block ×5, first 2 shown]
	v_fma_f32 v26, v26, s6, -v38
	v_fmac_f32_e32 v41, 0x3e31d0d4, v43
	v_fmac_f32_e32 v42, 0x3e31d0d4, v44
	v_fmac_f32_e32 v14, -0.5, v31
	v_fmac_f32_e32 v15, -0.5, v37
	v_fmac_f32_e32 v16, 0x3f5db3d7, v36
	v_fmac_f32_e32 v26, 0x3f5db3d7, v24
	v_fmac_f32_e32 v41, -0.5, v31
	v_fmac_f32_e32 v42, -0.5, v37
	v_fmac_f32_e32 v14, 0xbf708fb2, v35
	v_fmac_f32_e32 v15, 0xbf708fb2, v25
	;; [unrolled: 1-line block ×6, first 2 shown]
	v_add_f32_e32 v14, v18, v14
	v_sub_f32_e32 v15, v15, v19
	v_add_f32_e32 v24, v26, v41
	v_sub_f32_e32 v25, v42, v16
	v_add_u32_e32 v12, 0x800, v47
	v_fma_f32 v31, -2.0, v26, v24
	v_fma_f32 v32, 2.0, v16, v25
	ds_write2_b64 v12, v[14:15], v[20:21] offset0:32 offset1:176
	v_add_u32_e32 v12, 0x1000, v47
	v_fma_f32 v18, -2.0, v18, v14
	v_fma_f32 v19, 2.0, v19, v15
	v_fma_f32 v22, -2.0, v22, v20
	ds_write2_b64 v12, v[24:25], v[31:32] offset0:64 offset1:208
	v_add_u32_e32 v12, 0x1800, v47
	ds_write2_b64 v12, v[22:23], v[18:19] offset0:96 offset1:240
	ds_write_b64 v47, v[10:11] offset:9216
	s_waitcnt lgkmcnt(0)
	s_barrier
	s_and_saveexec_b64 s[6:7], s[0:1]
	s_cbranch_execz .LBB0_12
; %bb.11:
	s_movk_i32 s0, 0x1b0
	v_subrev_u32_e32 v4, 27, v28
	v_cmp_gt_u32_e32 vcc, s0, v0
	v_cndmask_b32_e32 v12, v4, v30, vcc
	v_lshlrev_b32_e32 v10, 1, v12
	v_mov_b32_e32 v11, 0
	v_lshlrev_b64 v[14:15], 3, v[10:11]
	v_mov_b32_e32 v16, s17
	v_add_co_u32_e32 v14, vcc, s16, v14
	v_addc_co_u32_e32 v15, vcc, v16, v15, vcc
	v_add_u32_e32 v4, 0xa2, v12
	global_load_dwordx4 v[18:21], v[14:15], off offset:624
	v_mul_lo_u32 v10, v3, v4
	s_load_dwordx2 s[0:1], s[4:5], 0x8
	v_add_u32_e32 v14, 0x51, v12
	v_mul_lo_u32 v22, v3, v14
	v_lshlrev_b32_sdwa v4, v7, v10 dst_sel:DWORD dst_unused:UNUSED_PAD src0_sel:DWORD src1_sel:BYTE_0
	v_lshlrev_b32_sdwa v23, v7, v10 dst_sel:DWORD dst_unused:UNUSED_PAD src0_sel:DWORD src1_sel:BYTE_1
	s_waitcnt lgkmcnt(0)
	global_load_dwordx2 v[14:15], v4, s[0:1]
	global_load_dwordx2 v[31:32], v23, s[0:1] offset:2048
	v_lshlrev_b32_sdwa v4, v7, v22 dst_sel:DWORD dst_unused:UNUSED_PAD src0_sel:DWORD src1_sel:BYTE_0
	v_lshlrev_b32_sdwa v23, v7, v22 dst_sel:DWORD dst_unused:UNUSED_PAD src0_sel:DWORD src1_sel:BYTE_1
	global_load_dwordx2 v[33:34], v4, s[0:1]
	global_load_dwordx2 v[35:36], v23, s[0:1] offset:2048
	v_mov_b32_e32 v4, 0x1000
	v_bfe_u32 v22, v22, 16, 8
	v_bfe_u32 v10, v10, 16, 8
	v_lshl_or_b32 v22, v22, 3, v4
	v_lshl_or_b32 v10, v10, 3, v4
	global_load_dwordx2 v[37:38], v22, s[0:1]
	global_load_dwordx2 v[39:40], v10, s[0:1]
	v_mul_lo_u32 v12, v3, v12
	ds_read_b64 v[41:42], v9
	s_movk_i32 s4, 0x360
	v_cmp_gt_u32_e32 vcc, s4, v0
	v_lshlrev_b32_sdwa v10, v7, v12 dst_sel:DWORD dst_unused:UNUSED_PAD src0_sel:DWORD src1_sel:BYTE_1
	v_lshlrev_b32_sdwa v9, v7, v12 dst_sel:DWORD dst_unused:UNUSED_PAD src0_sel:DWORD src1_sel:BYTE_0
	global_load_dwordx2 v[43:44], v10, s[0:1] offset:2048
	global_load_dwordx2 v[45:46], v9, s[0:1]
	v_subrev_u32_e32 v9, 54, v28
	v_cndmask_b32_e32 v26, v9, v29, vcc
	v_add_u32_e32 v9, 0xa2, v26
	v_lshlrev_b32_e32 v10, 1, v26
	v_mul_lo_u32 v55, v3, v9
	v_lshlrev_b64 v[9:10], 3, v[10:11]
	ds_read_b64 v[47:48], v17 offset:17280
	ds_read_b64 v[49:50], v17 offset:13824
	;; [unrolled: 1-line block ×4, first 2 shown]
	v_add_co_u32_e32 v9, vcc, s16, v9
	v_bfe_u32 v11, v12, 16, 8
	v_addc_co_u32_e32 v10, vcc, v16, v10, vcc
	v_lshl_or_b32 v11, v11, 3, v4
	global_load_dwordx4 v[22:25], v[9:10], off offset:624
	v_bfe_u32 v9, v55, 16, 8
	v_lshlrev_b32_sdwa v12, v7, v55 dst_sel:DWORD dst_unused:UNUSED_PAD src0_sel:DWORD src1_sel:BYTE_0
	v_lshlrev_b32_sdwa v57, v7, v55 dst_sel:DWORD dst_unused:UNUSED_PAD src0_sel:DWORD src1_sel:BYTE_1
	global_load_dwordx2 v[55:56], v11, s[0:1]
	v_lshl_or_b32 v11, v9, 3, v4
	v_mul_lo_u32 v6, s12, v6
	s_waitcnt vmcnt(10) lgkmcnt(3)
	v_mul_f32_e32 v9, v19, v48
	v_mul_f32_e32 v58, v19, v47
	s_waitcnt lgkmcnt(1)
	v_mul_f32_e32 v10, v52, v21
	v_mul_f32_e32 v21, v51, v21
	v_fma_f32 v59, v18, v47, -v9
	v_fmac_f32_e32 v58, v18, v48
	v_fma_f32 v51, v51, v20, -v10
	v_fmac_f32_e32 v21, v52, v20
	v_add_f32_e32 v9, v58, v21
	s_waitcnt vmcnt(8)
	v_mul_f32_e32 v10, v15, v32
	v_add_f32_e32 v18, v59, v51
	v_mul_f32_e32 v16, v14, v32
	v_fma_f32 v10, v14, v31, -v10
	v_fma_f32 v14, -0.5, v9, v42
	v_fma_f32 v48, -0.5, v18, v41
	v_sub_f32_e32 v20, v59, v51
	v_sub_f32_e32 v47, v58, v21
	v_fmac_f32_e32 v16, v15, v31
	v_mov_b32_e32 v60, v14
	s_waitcnt vmcnt(4)
	v_mul_f32_e32 v15, v10, v40
	v_mov_b32_e32 v18, v48
	v_mul_f32_e32 v9, v16, v40
	v_fmac_f32_e32 v15, v39, v16
	v_fmac_f32_e32 v60, 0x3f5db3d7, v20
	;; [unrolled: 1-line block ×3, first 2 shown]
	v_fma_f32 v40, v39, v10, -v9
	v_mul_f32_e32 v10, v18, v15
	v_mul_f32_e32 v9, v60, v15
	v_add_u32_e32 v15, 0x51, v26
	v_mul_lo_u32 v39, v3, v15
	v_mul_f32_e32 v19, v34, v36
	v_fma_f32 v52, v33, v35, -v19
	v_fma_f32 v9, v18, v40, -v9
	global_load_dwordx2 v[15:16], v12, s[0:1]
	global_load_dwordx2 v[18:19], v57, s[0:1] offset:2048
	v_bfe_u32 v12, v39, 16, 8
	v_mul_f32_e32 v36, v33, v36
	v_lshl_or_b32 v12, v12, 3, v4
	v_fmac_f32_e32 v36, v34, v35
	global_load_dwordx2 v[31:32], v12, s[0:1]
	global_load_dwordx2 v[33:34], v11, s[0:1]
	v_mul_lo_u32 v26, v3, v26
	v_mul_f32_e32 v11, v36, v38
	v_fma_f32 v57, v37, v52, -v11
	v_mul_f32_e32 v11, v52, v38
	v_lshlrev_b32_sdwa v12, v7, v39 dst_sel:DWORD dst_unused:UNUSED_PAD src0_sel:DWORD src1_sel:BYTE_0
	v_fmac_f32_e32 v11, v37, v36
	v_lshlrev_b32_sdwa v39, v7, v39 dst_sel:DWORD dst_unused:UNUSED_PAD src0_sel:DWORD src1_sel:BYTE_1
	global_load_dwordx2 v[35:36], v12, s[0:1]
	global_load_dwordx2 v[37:38], v39, s[0:1] offset:2048
	s_waitcnt vmcnt(8)
	v_mul_f32_e32 v12, v46, v44
	v_fmac_f32_e32 v10, v60, v40
	v_fma_f32 v52, v45, v43, -v12
	v_mul_f32_e32 v60, v45, v44
	v_lshlrev_b32_sdwa v45, v7, v26 dst_sel:DWORD dst_unused:UNUSED_PAD src0_sel:DWORD src1_sel:BYTE_1
	v_fmac_f32_e32 v60, v46, v43
	v_lshlrev_b32_sdwa v12, v7, v26 dst_sel:DWORD dst_unused:UNUSED_PAD src0_sel:DWORD src1_sel:BYTE_0
	global_load_dwordx2 v[39:40], v45, s[0:1] offset:2048
	global_load_dwordx2 v[43:44], v12, s[0:1]
	v_fmac_f32_e32 v48, 0x3f5db3d7, v47
	v_fmac_f32_e32 v14, 0xbf5db3d7, v20
	v_mul_f32_e32 v12, v48, v11
	ds_read_b64 v[45:46], v13
	v_bfe_u32 v13, v26, 16, 8
	v_mul_f32_e32 v11, v14, v11
	v_lshl_or_b32 v13, v13, 3, v4
	v_fmac_f32_e32 v12, v14, v57
	s_waitcnt vmcnt(8)
	v_mul_f32_e32 v14, v60, v56
	v_fma_f32 v11, v48, v57, -v11
	global_load_dwordx2 v[47:48], v13, s[0:1]
	v_add_f32_e32 v13, v42, v58
	v_fma_f32 v20, v55, v52, -v14
	v_add_f32_e32 v14, v41, v59
	v_mul_f32_e32 v26, v52, v56
	v_add_f32_e32 v13, v13, v21
	v_add_f32_e32 v21, v14, v51
	v_fmac_f32_e32 v26, v55, v60
	v_mul_f32_e32 v14, v21, v26
	v_fmac_f32_e32 v14, v13, v20
	v_mul_f32_e32 v13, v13, v26
	v_fma_f32 v13, v21, v20, -v13
	v_mul_f32_e32 v20, v23, v50
	v_fma_f32 v26, v22, v49, -v20
	s_waitcnt lgkmcnt(1)
	v_mul_f32_e32 v20, v25, v54
	v_fma_f32 v55, v24, v53, -v20
	v_mul_f32_e32 v57, v23, v49
	v_mul_f32_e32 v53, v25, v53
	v_fmac_f32_e32 v57, v22, v50
	v_fmac_f32_e32 v53, v24, v54
	v_add_f32_e32 v20, v57, v53
	s_waitcnt lgkmcnt(0)
	v_fma_f32 v54, -0.5, v20, v46
	v_sub_f32_e32 v56, v26, v55
	v_mov_b32_e32 v22, v54
	v_sub_f32_e32 v50, v57, v53
	v_fmac_f32_e32 v22, 0x3f5db3d7, v56
	v_mul_lo_u32 v59, v3, v1
	ds_read_b64 v[41:42], v17 offset:10368
	ds_read_b64 v[51:52], v17 offset:20736
	v_fmac_f32_e32 v54, 0xbf5db3d7, v56
	s_waitcnt vmcnt(7)
	v_mul_f32_e32 v20, v16, v19
	v_fma_f32 v20, v15, v18, -v20
	v_mul_f32_e32 v15, v15, v19
	v_fmac_f32_e32 v15, v16, v18
	s_waitcnt vmcnt(5)
	v_mul_f32_e32 v16, v15, v34
	v_fma_f32 v23, v33, v20, -v16
	v_add_f32_e32 v16, v26, v55
	v_fma_f32 v49, -0.5, v16, v45
	v_mov_b32_e32 v24, v49
	v_mul_f32_e32 v25, v20, v34
	v_fmac_f32_e32 v24, 0xbf5db3d7, v50
	v_lshlrev_b32_e32 v16, 4, v28
	v_fmac_f32_e32 v25, v33, v15
	global_load_dwordx4 v[18:21], v16, s[16:17] offset:624
	v_mul_f32_e32 v16, v24, v25
	v_mul_f32_e32 v15, v22, v25
	v_mul_lo_u32 v25, v3, v5
	v_fma_f32 v15, v24, v23, -v15
	s_waitcnt vmcnt(4)
	v_mul_f32_e32 v24, v36, v38
	v_fma_f32 v58, v35, v37, -v24
	v_mul_f32_e32 v38, v35, v38
	v_lshlrev_b32_sdwa v33, v7, v25 dst_sel:DWORD dst_unused:UNUSED_PAD src0_sel:DWORD src1_sel:BYTE_0
	v_bfe_u32 v24, v25, 16, 8
	v_fmac_f32_e32 v16, v22, v23
	s_waitcnt vmcnt(2)
	v_mul_f32_e32 v22, v44, v40
	v_fmac_f32_e32 v38, v36, v37
	v_lshlrev_b32_sdwa v34, v7, v25 dst_sel:DWORD dst_unused:UNUSED_PAD src0_sel:DWORD src1_sel:BYTE_1
	v_lshl_or_b32 v37, v24, 3, v4
	v_fma_f32 v60, v43, v39, -v22
	global_load_dwordx2 v[22:23], v33, s[0:1]
	global_load_dwordx2 v[24:25], v34, s[0:1] offset:2048
	v_mul_f32_e32 v61, v43, v40
	v_bfe_u32 v33, v59, 16, 8
	v_fmac_f32_e32 v61, v44, v39
	v_lshl_or_b32 v39, v33, 3, v4
	global_load_dwordx2 v[33:34], v39, s[0:1]
	global_load_dwordx2 v[35:36], v37, s[0:1]
	v_mul_f32_e32 v37, v38, v32
	v_mul_f32_e32 v39, v58, v32
	v_lshlrev_b32_sdwa v40, v7, v59 dst_sel:DWORD dst_unused:UNUSED_PAD src0_sel:DWORD src1_sel:BYTE_0
	v_fma_f32 v62, v31, v58, -v37
	v_fmac_f32_e32 v39, v31, v38
	v_lshlrev_b32_sdwa v43, v7, v59 dst_sel:DWORD dst_unused:UNUSED_PAD src0_sel:DWORD src1_sel:BYTE_1
	global_load_dwordx2 v[31:32], v40, s[0:1]
	global_load_dwordx2 v[37:38], v43, s[0:1] offset:2048
	v_mul_lo_u32 v3, v3, v28
	v_fmac_f32_e32 v49, 0x3f5db3d7, v50
	v_mul_f32_e32 v40, v49, v39
	v_mul_f32_e32 v39, v54, v39
	v_lshlrev_b32_sdwa v56, v7, v3 dst_sel:DWORD dst_unused:UNUSED_PAD src0_sel:DWORD src1_sel:BYTE_0
	v_lshlrev_b32_sdwa v7, v7, v3 dst_sel:DWORD dst_unused:UNUSED_PAD src0_sel:DWORD src1_sel:BYTE_1
	v_fma_f32 v39, v49, v62, -v39
	global_load_dwordx2 v[43:44], v7, s[0:1] offset:2048
	global_load_dwordx2 v[49:50], v56, s[0:1]
	v_bfe_u32 v3, v3, 16, 8
	v_lshl_or_b32 v3, v3, 3, v4
	global_load_dwordx2 v[3:4], v3, s[0:1]
	v_add_f32_e32 v26, v45, v26
	s_waitcnt vmcnt(10)
	v_mul_f32_e32 v45, v60, v48
	v_add_f32_e32 v7, v46, v57
	v_mul_f32_e32 v46, v61, v48
	v_add_f32_e32 v26, v26, v55
	v_fmac_f32_e32 v45, v47, v61
	v_add_f32_e32 v7, v7, v53
	v_fma_f32 v53, v47, v60, -v46
	v_mul_f32_e32 v46, v26, v45
	ds_read_b64 v[47:48], v17
	v_fmac_f32_e32 v46, v7, v53
	v_mul_f32_e32 v7, v7, v45
	v_fma_f32 v45, v26, v53, -v7
	v_fmac_f32_e32 v40, v54, v62
	s_waitcnt vmcnt(9) lgkmcnt(2)
	v_mul_f32_e32 v7, v19, v42
	s_waitcnt lgkmcnt(1)
	v_mul_f32_e32 v17, v21, v52
	v_mul_f32_e32 v21, v21, v51
	v_fma_f32 v7, v18, v41, -v7
	v_fma_f32 v26, v20, v51, -v17
	v_mul_f32_e32 v41, v19, v41
	v_fmac_f32_e32 v21, v20, v52
	v_fmac_f32_e32 v41, v18, v42
	v_add_f32_e32 v17, v41, v21
	s_waitcnt lgkmcnt(0)
	v_fma_f32 v19, -0.5, v17, v48
	v_sub_f32_e32 v53, v7, v26
	v_mov_b32_e32 v17, v19
	v_fmac_f32_e32 v17, 0x3f5db3d7, v53
	v_fmac_f32_e32 v19, 0xbf5db3d7, v53
	s_waitcnt vmcnt(7)
	v_mul_f32_e32 v20, v22, v25
	v_mul_f32_e32 v18, v23, v25
	v_fmac_f32_e32 v20, v23, v24
	v_add_f32_e32 v23, v7, v26
	v_fma_f32 v18, v22, v24, -v18
	v_fma_f32 v23, -0.5, v23, v47
	s_waitcnt vmcnt(5)
	v_mul_f32_e32 v22, v20, v36
	v_sub_f32_e32 v24, v41, v21
	v_mov_b32_e32 v25, v23
	v_mul_f32_e32 v36, v18, v36
	v_fmac_f32_e32 v25, 0xbf5db3d7, v24
	v_fmac_f32_e32 v36, v35, v20
	v_fma_f32 v22, v35, v18, -v22
	v_mul_f32_e32 v18, v25, v36
	v_fmac_f32_e32 v18, v17, v22
	v_mul_f32_e32 v17, v17, v36
	s_waitcnt vmcnt(3)
	v_mul_f32_e32 v20, v32, v38
	v_fma_f32 v17, v25, v22, -v17
	v_fma_f32 v20, v31, v37, -v20
	v_mul_f32_e32 v22, v31, v38
	v_fmac_f32_e32 v22, v32, v37
	v_fmac_f32_e32 v23, 0x3f5db3d7, v24
	v_mul_f32_e32 v24, v20, v34
	v_mul_f32_e32 v25, v22, v34
	v_fmac_f32_e32 v24, v33, v22
	v_fma_f32 v25, v33, v20, -v25
	v_mul_f32_e32 v20, v23, v24
	v_fmac_f32_e32 v20, v19, v25
	v_mul_f32_e32 v19, v19, v24
	v_fma_f32 v19, v23, v25, -v19
	v_add_f32_e32 v22, v48, v41
	s_waitcnt vmcnt(1)
	v_mul_f32_e32 v23, v49, v44
	v_add_f32_e32 v24, v22, v21
	v_mul_f32_e32 v21, v50, v44
	v_fmac_f32_e32 v23, v50, v43
	v_fma_f32 v21, v49, v43, -v21
	s_waitcnt vmcnt(0)
	v_mul_f32_e32 v22, v23, v4
	v_fma_f32 v25, v3, v21, -v22
	v_mul_f32_e32 v31, v21, v4
	v_mad_u64_u32 v[21:22], s[0:1], s8, v27, 0
	v_add_f32_e32 v7, v47, v7
	v_add_f32_e32 v26, v7, v26
	v_fmac_f32_e32 v31, v3, v23
	v_mul_f32_e32 v4, v26, v31
	v_fmac_f32_e32 v4, v24, v25
	v_mov_b32_e32 v3, v22
	v_mad_u64_u32 v[22:23], s[0:1], s9, v27, v[3:4]
	v_mul_lo_u32 v23, s13, v28
	v_mul_lo_u32 v27, s12, v8
	v_mad_u64_u32 v[7:8], s[0:1], s12, v28, 0
	s_lshl_b64 s[0:1], s[2:3], 3
	s_add_u32 s0, s14, s0
	v_lshlrev_b64 v[21:22], 3, v[21:22]
	s_addc_u32 s1, s15, s1
	v_add3_u32 v8, v8, v27, v23
	v_mov_b32_e32 v23, s1
	v_add_co_u32_e32 v21, vcc, s0, v21
	v_mul_f32_e32 v3, v24, v31
	v_addc_co_u32_e32 v22, vcc, v23, v22, vcc
	v_mul_lo_u32 v23, s13, v1
	v_mul_lo_u32 v24, s12, v2
	v_mad_u64_u32 v[1:2], s[0:1], s12, v1, 0
	v_lshlrev_b64 v[7:8], 3, v[7:8]
	v_fma_f32 v3, v26, v25, -v3
	v_add_co_u32_e32 v7, vcc, v21, v7
	v_addc_co_u32_e32 v8, vcc, v22, v8, vcc
	v_add3_u32 v2, v2, v24, v23
	global_store_dwordx2 v[7:8], v[3:4], off
	v_lshlrev_b64 v[1:2], 3, v[1:2]
	v_mul_lo_u32 v7, s13, v5
	v_mad_u64_u32 v[3:4], s[0:1], s12, v5, 0
	v_add_co_u32_e32 v1, vcc, v21, v1
	v_addc_co_u32_e32 v2, vcc, v22, v2, vcc
	s_movk_i32 s0, 0x35f
	v_add3_u32 v4, v4, v6, v7
	v_mov_b32_e32 v7, 0xa2
	v_cmp_lt_u32_e32 vcc, s0, v0
	global_store_dwordx2 v[1:2], v[19:20], off
	v_lshlrev_b64 v[1:2], 3, v[3:4]
	v_cndmask_b32_e32 v3, 0, v7, vcc
	v_add_u32_e32 v8, v3, v29
	v_mad_u64_u32 v[3:4], s[0:1], s12, v8, 0
	v_add_u32_e32 v19, 0x51, v8
	v_add_co_u32_e32 v1, vcc, v21, v1
	v_mad_u64_u32 v[4:5], s[0:1], s13, v8, v[4:5]
	v_mad_u64_u32 v[5:6], s[0:1], s12, v19, 0
	v_addc_co_u32_e32 v2, vcc, v22, v2, vcc
	global_store_dwordx2 v[1:2], v[17:18], off
	v_lshlrev_b64 v[1:2], 3, v[3:4]
	v_mov_b32_e32 v3, v6
	v_mad_u64_u32 v[3:4], s[0:1], s13, v19, v[3:4]
	v_add_co_u32_e32 v1, vcc, v21, v1
	v_addc_co_u32_e32 v2, vcc, v22, v2, vcc
	v_mov_b32_e32 v6, v3
	global_store_dwordx2 v[1:2], v[45:46], off
	v_lshlrev_b64 v[1:2], 3, v[5:6]
	v_add_u32_e32 v5, 0xa2, v8
	v_mad_u64_u32 v[3:4], s[0:1], s12, v5, 0
	v_add_co_u32_e32 v1, vcc, v21, v1
	v_mad_u64_u32 v[4:5], s[0:1], s13, v5, v[4:5]
	v_addc_co_u32_e32 v2, vcc, v22, v2, vcc
	s_movk_i32 s0, 0x1af
	v_cmp_lt_u32_e32 vcc, s0, v0
	v_cndmask_b32_e32 v0, 0, v7, vcc
	v_add_u32_e32 v7, v0, v30
	v_mad_u64_u32 v[5:6], s[0:1], s12, v7, 0
	global_store_dwordx2 v[1:2], v[39:40], off
	v_lshlrev_b64 v[0:1], 3, v[3:4]
	v_mov_b32_e32 v2, v6
	v_mad_u64_u32 v[2:3], s[0:1], s13, v7, v[2:3]
	v_add_u32_e32 v4, 0x51, v7
	v_add_co_u32_e32 v0, vcc, v21, v0
	v_mov_b32_e32 v6, v2
	v_mad_u64_u32 v[2:3], s[0:1], s12, v4, 0
	v_addc_co_u32_e32 v1, vcc, v22, v1, vcc
	global_store_dwordx2 v[0:1], v[15:16], off
	v_lshlrev_b64 v[0:1], 3, v[5:6]
	v_mad_u64_u32 v[3:4], s[0:1], s13, v4, v[3:4]
	v_add_u32_e32 v6, 0xa2, v7
	v_mad_u64_u32 v[4:5], s[0:1], s12, v6, 0
	v_add_co_u32_e32 v0, vcc, v21, v0
	v_addc_co_u32_e32 v1, vcc, v22, v1, vcc
	global_store_dwordx2 v[0:1], v[13:14], off
	v_lshlrev_b64 v[0:1], 3, v[2:3]
	v_mov_b32_e32 v2, v5
	v_mad_u64_u32 v[2:3], s[0:1], s13, v6, v[2:3]
	v_add_co_u32_e32 v0, vcc, v21, v0
	v_addc_co_u32_e32 v1, vcc, v22, v1, vcc
	v_mov_b32_e32 v5, v2
	global_store_dwordx2 v[0:1], v[11:12], off
	v_lshlrev_b64 v[0:1], 3, v[4:5]
	v_add_co_u32_e32 v0, vcc, v21, v0
	v_addc_co_u32_e32 v1, vcc, v22, v1, vcc
	global_store_dwordx2 v[0:1], v[9:10], off
.LBB0_12:
	s_endpgm
	.section	.rodata,"a",@progbits
	.p2align	6, 0x0
	.amdhsa_kernel fft_rtc_fwd_len243_factors_3_3_9_3_wgs_432_tpt_27_dim2_sp_ip_CI_sbcc_twdbase8_3step_dirReg
		.amdhsa_group_segment_fixed_size 0
		.amdhsa_private_segment_fixed_size 0
		.amdhsa_kernarg_size 88
		.amdhsa_user_sgpr_count 6
		.amdhsa_user_sgpr_private_segment_buffer 1
		.amdhsa_user_sgpr_dispatch_ptr 0
		.amdhsa_user_sgpr_queue_ptr 0
		.amdhsa_user_sgpr_kernarg_segment_ptr 1
		.amdhsa_user_sgpr_dispatch_id 0
		.amdhsa_user_sgpr_flat_scratch_init 0
		.amdhsa_user_sgpr_private_segment_size 0
		.amdhsa_uses_dynamic_stack 0
		.amdhsa_system_sgpr_private_segment_wavefront_offset 0
		.amdhsa_system_sgpr_workgroup_id_x 1
		.amdhsa_system_sgpr_workgroup_id_y 0
		.amdhsa_system_sgpr_workgroup_id_z 0
		.amdhsa_system_sgpr_workgroup_info 0
		.amdhsa_system_vgpr_workitem_id 0
		.amdhsa_next_free_vgpr 63
		.amdhsa_next_free_sgpr 24
		.amdhsa_reserve_vcc 1
		.amdhsa_reserve_flat_scratch 0
		.amdhsa_float_round_mode_32 0
		.amdhsa_float_round_mode_16_64 0
		.amdhsa_float_denorm_mode_32 3
		.amdhsa_float_denorm_mode_16_64 3
		.amdhsa_dx10_clamp 1
		.amdhsa_ieee_mode 1
		.amdhsa_fp16_overflow 0
		.amdhsa_exception_fp_ieee_invalid_op 0
		.amdhsa_exception_fp_denorm_src 0
		.amdhsa_exception_fp_ieee_div_zero 0
		.amdhsa_exception_fp_ieee_overflow 0
		.amdhsa_exception_fp_ieee_underflow 0
		.amdhsa_exception_fp_ieee_inexact 0
		.amdhsa_exception_int_div_zero 0
	.end_amdhsa_kernel
	.text
.Lfunc_end0:
	.size	fft_rtc_fwd_len243_factors_3_3_9_3_wgs_432_tpt_27_dim2_sp_ip_CI_sbcc_twdbase8_3step_dirReg, .Lfunc_end0-fft_rtc_fwd_len243_factors_3_3_9_3_wgs_432_tpt_27_dim2_sp_ip_CI_sbcc_twdbase8_3step_dirReg
                                        ; -- End function
	.section	.AMDGPU.csdata,"",@progbits
; Kernel info:
; codeLenInByte = 6076
; NumSgprs: 28
; NumVgprs: 63
; ScratchSize: 0
; MemoryBound: 0
; FloatMode: 240
; IeeeMode: 1
; LDSByteSize: 0 bytes/workgroup (compile time only)
; SGPRBlocks: 3
; VGPRBlocks: 15
; NumSGPRsForWavesPerEU: 28
; NumVGPRsForWavesPerEU: 63
; Occupancy: 4
; WaveLimiterHint : 1
; COMPUTE_PGM_RSRC2:SCRATCH_EN: 0
; COMPUTE_PGM_RSRC2:USER_SGPR: 6
; COMPUTE_PGM_RSRC2:TRAP_HANDLER: 0
; COMPUTE_PGM_RSRC2:TGID_X_EN: 1
; COMPUTE_PGM_RSRC2:TGID_Y_EN: 0
; COMPUTE_PGM_RSRC2:TGID_Z_EN: 0
; COMPUTE_PGM_RSRC2:TIDIG_COMP_CNT: 0
	.type	__hip_cuid_9c9cb4d2d1c6fe3,@object ; @__hip_cuid_9c9cb4d2d1c6fe3
	.section	.bss,"aw",@nobits
	.globl	__hip_cuid_9c9cb4d2d1c6fe3
__hip_cuid_9c9cb4d2d1c6fe3:
	.byte	0                               ; 0x0
	.size	__hip_cuid_9c9cb4d2d1c6fe3, 1

	.ident	"AMD clang version 19.0.0git (https://github.com/RadeonOpenCompute/llvm-project roc-6.4.0 25133 c7fe45cf4b819c5991fe208aaa96edf142730f1d)"
	.section	".note.GNU-stack","",@progbits
	.addrsig
	.addrsig_sym __hip_cuid_9c9cb4d2d1c6fe3
	.amdgpu_metadata
---
amdhsa.kernels:
  - .args:
      - .actual_access:  read_only
        .address_space:  global
        .offset:         0
        .size:           8
        .value_kind:     global_buffer
      - .address_space:  global
        .offset:         8
        .size:           8
        .value_kind:     global_buffer
      - .actual_access:  read_only
        .address_space:  global
        .offset:         16
        .size:           8
        .value_kind:     global_buffer
      - .actual_access:  read_only
        .address_space:  global
        .offset:         24
        .size:           8
        .value_kind:     global_buffer
      - .offset:         32
        .size:           8
        .value_kind:     by_value
      - .actual_access:  read_only
        .address_space:  global
        .offset:         40
        .size:           8
        .value_kind:     global_buffer
      - .actual_access:  read_only
        .address_space:  global
        .offset:         48
        .size:           8
        .value_kind:     global_buffer
      - .offset:         56
        .size:           4
        .value_kind:     by_value
      - .actual_access:  read_only
        .address_space:  global
        .offset:         64
        .size:           8
        .value_kind:     global_buffer
      - .actual_access:  read_only
        .address_space:  global
        .offset:         72
        .size:           8
        .value_kind:     global_buffer
      - .address_space:  global
        .offset:         80
        .size:           8
        .value_kind:     global_buffer
    .group_segment_fixed_size: 0
    .kernarg_segment_align: 8
    .kernarg_segment_size: 88
    .language:       OpenCL C
    .language_version:
      - 2
      - 0
    .max_flat_workgroup_size: 432
    .name:           fft_rtc_fwd_len243_factors_3_3_9_3_wgs_432_tpt_27_dim2_sp_ip_CI_sbcc_twdbase8_3step_dirReg
    .private_segment_fixed_size: 0
    .sgpr_count:     28
    .sgpr_spill_count: 0
    .symbol:         fft_rtc_fwd_len243_factors_3_3_9_3_wgs_432_tpt_27_dim2_sp_ip_CI_sbcc_twdbase8_3step_dirReg.kd
    .uniform_work_group_size: 1
    .uses_dynamic_stack: false
    .vgpr_count:     63
    .vgpr_spill_count: 0
    .wavefront_size: 64
amdhsa.target:   amdgcn-amd-amdhsa--gfx906
amdhsa.version:
  - 1
  - 2
...

	.end_amdgpu_metadata
